;; amdgpu-corpus repo=ROCm/rocFFT kind=compiled arch=gfx90a opt=O3
	.text
	.amdgcn_target "amdgcn-amd-amdhsa--gfx90a"
	.amdhsa_code_object_version 6
	.protected	fft_rtc_back_len280_factors_2_7_10_2_wgs_252_tpt_28_dim3_sp_ip_CI_sbcc_twdbase8_2step_dirReg_intrinsicReadWrite ; -- Begin function fft_rtc_back_len280_factors_2_7_10_2_wgs_252_tpt_28_dim3_sp_ip_CI_sbcc_twdbase8_2step_dirReg_intrinsicReadWrite
	.globl	fft_rtc_back_len280_factors_2_7_10_2_wgs_252_tpt_28_dim3_sp_ip_CI_sbcc_twdbase8_2step_dirReg_intrinsicReadWrite
	.p2align	8
	.type	fft_rtc_back_len280_factors_2_7_10_2_wgs_252_tpt_28_dim3_sp_ip_CI_sbcc_twdbase8_2step_dirReg_intrinsicReadWrite,@function
fft_rtc_back_len280_factors_2_7_10_2_wgs_252_tpt_28_dim3_sp_ip_CI_sbcc_twdbase8_2step_dirReg_intrinsicReadWrite: ; @fft_rtc_back_len280_factors_2_7_10_2_wgs_252_tpt_28_dim3_sp_ip_CI_sbcc_twdbase8_2step_dirReg_intrinsicReadWrite
; %bb.0:
	s_load_dwordx4 s[0:3], s[4:5], 0x10
	s_mov_b32 s7, 0
	s_mov_b64 s[20:21], 0
	s_waitcnt lgkmcnt(0)
	s_load_dwordx2 s[10:11], s[0:1], 0x8
	s_waitcnt lgkmcnt(0)
	s_add_u32 s8, s10, -1
	s_addc_u32 s9, s11, -1
	s_add_u32 s12, 0, 0x71c4fc00
	s_addc_u32 s13, 0, 0x7c
	s_mul_hi_u32 s15, s12, -9
	s_add_i32 s13, s13, 0x1c71c6a0
	s_sub_i32 s15, s15, s12
	s_mul_i32 s18, s13, -9
	s_mul_i32 s14, s12, -9
	s_add_i32 s15, s15, s18
	s_mul_hi_u32 s16, s13, s14
	s_mul_i32 s17, s13, s14
	s_mul_i32 s19, s12, s15
	s_mul_hi_u32 s14, s12, s14
	s_mul_hi_u32 s18, s12, s15
	s_add_u32 s14, s14, s19
	s_addc_u32 s18, 0, s18
	s_add_u32 s14, s14, s17
	s_mul_hi_u32 s19, s13, s15
	s_addc_u32 s14, s18, s16
	s_addc_u32 s16, s19, 0
	s_mul_i32 s15, s13, s15
	s_add_u32 s14, s14, s15
	v_mov_b32_e32 v1, s14
	s_addc_u32 s15, 0, s16
	v_add_co_u32_e32 v1, vcc, s12, v1
	s_cmp_lg_u64 vcc, 0
	s_addc_u32 s12, s13, s15
	v_readfirstlane_b32 s15, v1
	s_mul_i32 s14, s8, s12
	s_mul_hi_u32 s16, s8, s15
	s_mul_hi_u32 s13, s8, s12
	s_add_u32 s14, s16, s14
	s_addc_u32 s13, 0, s13
	s_mul_hi_u32 s17, s9, s15
	s_mul_i32 s15, s9, s15
	s_add_u32 s14, s14, s15
	s_mul_hi_u32 s16, s9, s12
	s_addc_u32 s13, s13, s17
	s_addc_u32 s14, s16, 0
	s_mul_i32 s12, s9, s12
	s_add_u32 s12, s13, s12
	s_addc_u32 s13, 0, s14
	s_add_u32 s14, s12, 1
	s_addc_u32 s15, s13, 0
	s_add_u32 s16, s12, 2
	s_mul_i32 s18, s13, 9
	s_mul_hi_u32 s19, s12, 9
	s_addc_u32 s17, s13, 0
	s_add_i32 s19, s19, s18
	s_mul_i32 s18, s12, 9
	v_mov_b32_e32 v1, s18
	v_sub_co_u32_e32 v1, vcc, s8, v1
	s_cmp_lg_u64 vcc, 0
	s_subb_u32 s8, s9, s19
	v_subrev_co_u32_e32 v2, vcc, 9, v1
	s_cmp_lg_u64 vcc, 0
	s_subb_u32 s9, s8, 0
	v_readfirstlane_b32 s18, v2
	s_cmp_gt_u32 s18, 8
	s_cselect_b32 s18, -1, 0
	s_cmp_eq_u32 s9, 0
	s_cselect_b32 s9, s18, -1
	s_cmp_lg_u32 s9, 0
	s_cselect_b32 s9, s16, s14
	s_cselect_b32 s14, s17, s15
	v_readfirstlane_b32 s15, v1
	s_cmp_gt_u32 s15, 8
	s_cselect_b32 s15, -1, 0
	s_cmp_eq_u32 s8, 0
	s_cselect_b32 s8, s15, -1
	s_cmp_lg_u32 s8, 0
	s_cselect_b32 s9, s9, s12
	s_cselect_b32 s8, s14, s13
	s_add_u32 s18, s9, 1
	s_addc_u32 s19, s8, 0
	v_pk_mov_b32 v[2:3], s[18:19], s[18:19] op_sel:[0,1]
	v_cmp_lt_u64_e32 vcc, s[6:7], v[2:3]
	s_cbranch_vccnz .LBB0_2
; %bb.1:
	v_cvt_f32_u32_e32 v1, s18
	s_sub_i32 s8, 0, s18
	s_mov_b32 s21, s7
	v_rcp_iflag_f32_e32 v1, v1
	v_mul_f32_e32 v1, 0x4f7ffffe, v1
	v_cvt_u32_f32_e32 v1, v1
	v_readfirstlane_b32 s9, v1
	s_mul_i32 s8, s8, s9
	s_mul_hi_u32 s8, s9, s8
	s_add_i32 s9, s9, s8
	s_mul_hi_u32 s8, s6, s9
	s_mul_i32 s12, s8, s18
	s_sub_i32 s12, s6, s12
	s_add_i32 s9, s8, 1
	s_sub_i32 s13, s12, s18
	s_cmp_ge_u32 s12, s18
	s_cselect_b32 s8, s9, s8
	s_cselect_b32 s12, s13, s12
	s_add_i32 s9, s8, 1
	s_cmp_ge_u32 s12, s18
	s_cselect_b32 s20, s9, s8
.LBB0_2:
	s_load_dwordx2 s[22:23], s[0:1], 0x10
	s_load_dwordx2 s[8:9], s[4:5], 0x50
	s_load_dwordx4 s[12:15], s[2:3], 0x0
	s_mov_b64 s[0:1], s[20:21]
	s_waitcnt lgkmcnt(0)
	v_pk_mov_b32 v[2:3], s[22:23], s[22:23] op_sel:[0,1]
	v_cmp_lt_u64_e32 vcc, s[20:21], v[2:3]
	s_cbranch_vccnz .LBB0_4
; %bb.3:
	v_cvt_f32_u32_e32 v1, s22
	s_sub_i32 s0, 0, s22
	v_rcp_iflag_f32_e32 v1, v1
	v_mul_f32_e32 v1, 0x4f7ffffe, v1
	v_cvt_u32_f32_e32 v1, v1
	v_readfirstlane_b32 s1, v1
	s_mul_i32 s0, s0, s1
	s_mul_hi_u32 s0, s1, s0
	s_add_i32 s1, s1, s0
	s_mul_hi_u32 s0, s20, s1
	s_mul_i32 s0, s0, s22
	s_sub_i32 s0, s20, s0
	s_sub_i32 s1, s0, s22
	s_cmp_ge_u32 s0, s22
	s_cselect_b32 s0, s1, s0
	s_sub_i32 s1, s0, s22
	s_cmp_ge_u32 s0, s22
	s_cselect_b32 s0, s1, s0
.LBB0_4:
	s_mul_i32 s1, s22, s19
	s_mul_hi_u32 s13, s22, s18
	s_load_dwordx2 s[16:17], s[4:5], 0x0
	s_add_i32 s1, s13, s1
	s_mul_i32 s13, s23, s18
	s_mul_i32 s24, s22, s18
	s_load_dwordx2 s[22:23], s[2:3], 0x10
	s_add_i32 s25, s1, s13
	v_pk_mov_b32 v[2:3], s[24:25], s[24:25] op_sel:[0,1]
	v_cmp_lt_u64_e32 vcc, s[6:7], v[2:3]
	s_mov_b64 s[26:27], 0
	s_cbranch_vccnz .LBB0_6
; %bb.5:
	v_cvt_f32_u32_e32 v1, s24
	s_sub_i32 s1, 0, s24
	v_rcp_iflag_f32_e32 v1, v1
	v_mul_f32_e32 v1, 0x4f7ffffe, v1
	v_cvt_u32_f32_e32 v1, v1
	v_readfirstlane_b32 s7, v1
	s_mul_i32 s1, s1, s7
	s_mul_hi_u32 s1, s7, s1
	s_add_i32 s7, s7, s1
	s_mul_hi_u32 s1, s6, s7
	s_mul_i32 s13, s1, s24
	s_sub_i32 s13, s6, s13
	s_add_i32 s7, s1, 1
	s_sub_i32 s15, s13, s24
	s_cmp_ge_u32 s13, s24
	s_cselect_b32 s1, s7, s1
	s_cselect_b32 s13, s15, s13
	s_add_i32 s7, s1, 1
	s_cmp_ge_u32 s13, s24
	s_cselect_b32 s26, s7, s1
.LBB0_6:
	s_mul_i32 s1, s20, s19
	s_mul_hi_u32 s7, s20, s18
	s_load_dword s2, s[2:3], 0x18
	s_add_i32 s7, s7, s1
	s_mul_i32 s1, s20, s18
	s_sub_u32 s1, s6, s1
	v_mul_u32_u24_e32 v1, 0x1c72, v0
	s_mul_i32 s3, s1, 9
	v_lshrrev_b32_e32 v50, 16, v1
	s_subb_u32 s6, 0, s7
	s_mul_i32 s13, s14, s3
	s_waitcnt lgkmcnt(0)
	s_mul_i32 s0, s22, s0
	v_mul_lo_u16_e32 v1, 9, v50
	s_mul_i32 s6, s6, 9
	s_mul_hi_u32 s7, s1, 9
	s_add_i32 s0, s0, s13
	s_mul_i32 s2, s2, s26
	v_sub_u16_e32 v4, v0, v1
	v_mov_b32_e32 v5, 0
	s_add_i32 s7, s7, s6
	s_add_i32 s2, s2, s0
	v_mad_u64_u32 v[16:17], s[0:1], s1, 9, v[4:5]
	s_add_u32 s0, s3, 9
	s_addc_u32 s1, s7, 0
	v_pk_mov_b32 v[2:3], s[10:11], s[10:11] op_sel:[0,1]
	v_add_u32_e32 v17, s6, v17
	v_cmp_le_u64_e32 vcc, s[0:1], v[2:3]
	v_mad_u64_u32 v[14:15], s[0:1], s14, v4, 0
	v_mul_lo_u32 v1, s12, v50
	v_cmp_gt_u64_e64 s[0:1], s[10:11], v[16:17]
	v_add_lshl_u32 v1, v14, v1, 3
	s_or_b64 vcc, vcc, s[0:1]
	v_add_u32_e32 v51, 0x8c, v50
	v_cndmask_b32_e32 v15, -1, v1, vcc
	v_mul_lo_u32 v1, s12, v51
	v_add_u32_e32 v2, 0xa8, v50
	v_add_lshl_u32 v1, v14, v1, 3
	v_add_u32_e32 v48, 28, v50
	v_mul_lo_u32 v2, s12, v2
	v_cndmask_b32_e32 v47, -1, v1, vcc
	v_mul_lo_u32 v1, s12, v48
	v_add_lshl_u32 v2, v14, v2, 3
	s_lshl_b32 s13, s2, 3
	s_mov_b32 s11, 0x20000
	s_mov_b32 s10, -2
	v_add_lshl_u32 v1, v14, v1, 3
	v_cndmask_b32_e32 v2, -1, v2, vcc
	v_cndmask_b32_e32 v1, -1, v1, vcc
	buffer_load_dwordx2 v[6:7], v15, s[8:11], s13 offen
	buffer_load_dwordx2 v[8:9], v47, s[8:11], s13 offen
	;; [unrolled: 1-line block ×4, first 2 shown]
	v_add_u32_e32 v49, 56, v50
	v_add_u32_e32 v2, 0xc4, v50
	;; [unrolled: 1-line block ×3, first 2 shown]
	v_mul_lo_u32 v1, s12, v49
	v_mul_lo_u32 v2, s12, v2
	;; [unrolled: 1-line block ×3, first 2 shown]
	v_or_b32_e32 v5, 0xe0, v50
	v_add_lshl_u32 v1, v14, v1, 3
	v_add_lshl_u32 v3, v14, v3, 3
	v_mul_lo_u32 v5, s12, v5
	v_add_lshl_u32 v2, v14, v2, 3
	v_cndmask_b32_e32 v1, -1, v1, vcc
	v_cndmask_b32_e32 v3, -1, v3, vcc
	v_add_lshl_u32 v5, v14, v5, 3
	v_cndmask_b32_e32 v2, -1, v2, vcc
	v_add_u32_e32 v46, 0x70, v50
	v_cndmask_b32_e32 v5, -1, v5, vcc
	buffer_load_dwordx2 v[20:21], v3, s[8:11], s13 offen
	buffer_load_dwordx2 v[18:19], v5, s[8:11], s13 offen
	;; [unrolled: 1-line block ×4, first 2 shown]
	v_mul_lo_u32 v1, s12, v46
	v_add_u32_e32 v2, 0xfc, v50
	v_add_lshl_u32 v1, v14, v1, 3
	v_mul_lo_u32 v2, s12, v2
	v_cndmask_b32_e32 v1, -1, v1, vcc
	v_add_lshl_u32 v2, v14, v2, 3
	v_cndmask_b32_e32 v2, -1, v2, vcc
	buffer_load_dwordx2 v[26:27], v1, s[8:11], s13 offen
	buffer_load_dwordx2 v[28:29], v2, s[8:11], s13 offen
	s_movk_i32 s0, 0x90
	v_mad_u32_u24 v3, v50, s0, 0
	v_lshlrev_b32_e32 v1, 3, v4
	v_add_u32_e32 v2, 0xfc0, v3
	v_add_u32_e32 v3, v3, v1
	;; [unrolled: 1-line block ×3, first 2 shown]
	s_movk_i32 s0, 0xffb8
	v_mad_i32_i24 v52, v50, s0, v3
	s_movk_i32 s0, 0x6c
	v_cmp_gt_u32_e64 s[0:1], s0, v0
	s_waitcnt vmcnt(8)
	v_pk_add_f32 v[4:5], v[6:7], v[8:9] neg_lo:[0,1] neg_hi:[0,1]
	v_pk_fma_f32 v[6:7], v[6:7], 2.0, v[4:5] op_sel_hi:[1,0,1] neg_lo:[0,0,1] neg_hi:[0,0,1]
	s_waitcnt vmcnt(6)
	v_pk_add_f32 v[8:9], v[10:11], v[12:13] neg_lo:[0,1] neg_hi:[0,1]
	ds_write2_b64 v3, v[6:7], v[4:5] offset1:9
	v_pk_fma_f32 v[4:5], v[10:11], 2.0, v[8:9] op_sel_hi:[1,0,1] neg_lo:[0,0,1] neg_hi:[0,0,1]
	ds_write2_b64 v30, v[4:5], v[8:9] offset1:9
	v_add_u32_e32 v8, 0xc00, v30
	s_waitcnt vmcnt(4)
	v_pk_add_f32 v[18:19], v[20:21], v[18:19] neg_lo:[0,1] neg_hi:[0,1]
	s_waitcnt vmcnt(2)
	v_pk_add_f32 v[4:5], v[22:23], v[24:25] neg_lo:[0,1] neg_hi:[0,1]
	v_pk_fma_f32 v[6:7], v[22:23], 2.0, v[4:5] op_sel_hi:[1,0,1] neg_lo:[0,0,1] neg_hi:[0,0,1]
	ds_write2_b64 v8, v[6:7], v[4:5] offset0:120 offset1:129
	v_pk_fma_f32 v[4:5], v[20:21], 2.0, v[18:19] op_sel_hi:[1,0,1] neg_lo:[0,0,1] neg_hi:[0,0,1]
	v_add_u32_e32 v6, 0x1800, v30
	ds_write2_b64 v6, v[4:5], v[18:19] offset0:240 offset1:249
	v_add_u32_e32 v4, 0x2800, v30
                                        ; implicit-def: $vgpr25
                                        ; implicit-def: $vgpr30
	s_waitcnt vmcnt(0)
	v_pk_add_f32 v[20:21], v[26:27], v[28:29] neg_lo:[0,1] neg_hi:[0,1]
	v_pk_fma_f32 v[22:23], v[26:27], 2.0, v[20:21] op_sel_hi:[1,0,1] neg_lo:[0,0,1] neg_hi:[0,0,1]
	ds_write2_b64 v4, v[22:23], v[20:21] offset0:232 offset1:241
	s_waitcnt lgkmcnt(0)
	s_barrier
	ds_read_b64 v[32:33], v52
	ds_read_b64 v[40:41], v52 offset:2880
	ds_read_b64 v[38:39], v52 offset:5760
	;; [unrolled: 1-line block ×6, first 2 shown]
                                        ; implicit-def: $vgpr28
                                        ; implicit-def: $vgpr26
	s_and_saveexec_b64 s[2:3], s[0:1]
	s_cbranch_execz .LBB0_8
; %bb.7:
	v_mul_i32_i24_e32 v3, 0xffffffb8, v48
	v_add3_u32 v2, v2, v3, v1
	v_add_u32_e32 v3, 0x2800, v52
	ds_read2_b32 v[24:25], v3 offset0:104 offset1:105
	ds_read_b64 v[22:23], v52 offset:4896
	ds_read_b64 v[20:21], v52 offset:7776
	ds_read_b64 v[28:29], v52 offset:13536
	ds_read_b64 v[26:27], v52 offset:16416
	ds_read_b64 v[18:19], v2
	ds_read_b64 v[30:31], v52 offset:19296
.LBB0_8:
	s_or_b64 exec, exec, s[2:3]
	v_and_b32_e32 v53, 1, v50
	v_mul_u32_u24_e32 v2, 6, v53
	v_lshlrev_b32_e32 v54, 3, v2
	global_load_dwordx4 v[10:13], v54, s[16:17] offset:16
	global_load_dwordx4 v[2:5], v54, s[16:17]
	global_load_dwordx4 v[6:9], v54, s[16:17] offset:32
	s_waitcnt lgkmcnt(2)
	v_mov_b32_e32 v56, v43
	v_lshrrev_b32_e32 v43, 1, v50
	v_mul_u32_u24_e32 v43, 14, v43
	v_mov_b32_e32 v58, v41
	v_or_b32_e32 v43, v43, v53
	v_mov_b32_e32 v60, v39
	v_mul_u32_u24_e32 v43, 0x48, v43
	v_mov_b32_e32 v54, v45
	v_mov_b32_e32 v55, v44
	s_waitcnt lgkmcnt(1)
	v_mov_b32_e32 v62, v37
	v_add3_u32 v43, 0, v43, v1
	v_mov_b32_e32 v57, v42
	s_waitcnt lgkmcnt(0)
	v_mov_b32_e32 v64, v35
	s_mov_b32 s6, 0x3f08b237
	s_mov_b32 s22, 0x3d64c772
	;; [unrolled: 1-line block ×10, first 2 shown]
	s_barrier
	s_mov_b32 s14, 0xbf5ff5aa
	s_mov_b32 s18, 0x3f3bfb3b
	s_waitcnt vmcnt(2)
	v_mov_b32_e32 v66, v11
	s_waitcnt vmcnt(1)
	v_pk_mul_f32 v[74:75], v[2:3], v[40:41] op_sel_hi:[1,0]
	v_pk_fma_f32 v[58:59], v[2:3], v[58:59], v[74:75] op_sel:[0,0,1] op_sel_hi:[1,1,0] neg_lo:[0,0,1] neg_hi:[0,0,1]
	v_pk_fma_f32 v[40:41], v[2:3], v[40:41], v[74:75] op_sel:[0,1,1] op_sel_hi:[1,1,0]
	v_pk_mul_f32 v[74:75], v[4:5], v[38:39] op_sel_hi:[1,0]
	v_pk_fma_f32 v[60:61], v[4:5], v[60:61], v[74:75] op_sel:[0,0,1] op_sel_hi:[1,1,0] neg_lo:[0,0,1] neg_hi:[0,0,1]
	v_pk_fma_f32 v[38:39], v[4:5], v[38:39], v[74:75] op_sel:[0,1,1] op_sel_hi:[1,1,0]
	s_waitcnt vmcnt(0)
	v_pk_mul_f32 v[74:75], v[6:7], v[36:37] op_sel_hi:[1,0]
	v_pk_mul_f32 v[68:69], v[10:11], v[54:55]
	v_pk_mul_f32 v[70:71], v[12:13], v[42:43] op_sel_hi:[1,0]
	v_mov_b32_e32 v42, v13
	v_pk_fma_f32 v[62:63], v[6:7], v[62:63], v[74:75] op_sel:[0,0,1] op_sel_hi:[1,1,0] neg_lo:[0,0,1] neg_hi:[0,0,1]
	v_pk_fma_f32 v[36:37], v[6:7], v[36:37], v[74:75] op_sel:[0,1,1] op_sel_hi:[1,1,0]
	v_pk_mul_f32 v[74:75], v[8:9], v[34:35] op_sel_hi:[1,0]
	v_pk_mul_f32 v[44:45], v[10:11], v[44:45] op_sel_hi:[1,0]
	v_pk_mul_f32 v[72:73], v[12:13], v[56:57]
	v_pk_mul_f32 v[66:67], v[66:67], v[54:55]
	v_mov_b32_e32 v36, v69
	v_pk_fma_f32 v[64:65], v[8:9], v[64:65], v[74:75] op_sel:[0,0,1] op_sel_hi:[1,1,0] neg_lo:[0,0,1] neg_hi:[0,0,1]
	v_pk_fma_f32 v[34:35], v[8:9], v[34:35], v[74:75] op_sel:[0,1,1] op_sel_hi:[1,1,0]
	v_pk_mul_f32 v[68:69], v[42:43], v[56:57]
	v_mov_b32_e32 v34, v73
	v_mov_b32_e32 v59, v41
	;; [unrolled: 1-line block ×9, first 2 shown]
	v_pk_fma_f32 v[54:55], v[10:11], v[54:55], v[36:37] neg_lo:[0,0,1] neg_hi:[0,0,1]
	v_pk_fma_f32 v[56:57], v[12:13], v[56:57], v[34:35] neg_lo:[0,0,1] neg_hi:[0,0,1]
	v_pk_add_f32 v[34:35], v[58:59], v[64:65]
	v_pk_add_f32 v[36:37], v[58:59], v[64:65] neg_lo:[0,1] neg_hi:[0,1]
	v_pk_add_f32 v[38:39], v[60:61], v[62:63]
	v_pk_add_f32 v[58:59], v[70:71], v[68:69]
	;; [unrolled: 1-line block ×3, first 2 shown]
	v_pk_add_f32 v[40:41], v[60:61], v[62:63] neg_lo:[0,1] neg_hi:[0,1]
	v_mov_b32_e32 v61, v54
	v_mov_b32_e32 v63, v56
	;; [unrolled: 1-line block ×6, first 2 shown]
	v_pk_add_f32 v[72:73], v[44:45], v[58:59]
	v_pk_add_f32 v[54:55], v[56:57], v[54:55] neg_lo:[0,1] neg_hi:[0,1]
	v_pk_add_f32 v[56:57], v[60:61], v[62:63]
	v_mov_b32_e32 v65, v37
	v_mov_b32_e32 v66, v40
	v_mov_b32_e32 v68, v36
	v_mov_b32_e32 v71, v41
	v_mov_b32_e32 v74, v39
	v_mov_b32_e32 v58, v72
	v_mov_b32_e32 v64, v54
	v_mov_b32_e32 v67, v55
	v_mov_b32_e32 v69, v55
	v_mov_b32_e32 v70, v54
	v_mov_b32_e32 v75, v57
	v_pk_add_f32 v[60:61], v[64:65], v[66:67] neg_lo:[0,1] neg_hi:[0,1]
	v_pk_add_f32 v[62:63], v[68:69], v[70:71] neg_lo:[0,1] neg_hi:[0,1]
	v_pk_add_f32 v[64:65], v[58:59], v[74:75] neg_lo:[0,1] neg_hi:[0,1]
	v_mov_b32_e32 v68, v35
	v_mov_b32_e32 v69, v57
	;; [unrolled: 1-line block ×3, first 2 shown]
	v_pk_add_f32 v[56:57], v[56:57], v[72:73]
	v_pk_add_f32 v[54:55], v[54:55], v[40:41]
	v_pk_mul_f32 v[60:61], v[60:61], s[6:7]
	v_pk_add_f32 v[68:69], v[68:69], v[44:45] neg_lo:[0,1] neg_hi:[0,1]
	v_pk_add_f32 v[32:33], v[56:57], v[32:33]
	v_pk_mul_f32 v[64:65], v[64:65], s[22:23]
	v_pk_add_f32 v[54:55], v[54:55], v[36:37]
	v_pk_mul_f32 v[66:67], v[62:63], s[10:11]
	v_pk_mul_f32 v[70:71], v[68:69], s[24:25]
	v_pk_fma_f32 v[56:57], v[56:57], s[20:21], v[32:33] op_sel_hi:[1,0,1]
	v_pk_fma_f32 v[68:69], v[68:69], s[24:25], v[64:65]
	v_pk_fma_f32 v[62:63], v[62:63], s[10:11], v[60:61]
	v_pk_add_f32 v[68:69], v[68:69], v[56:57]
	v_pk_fma_f32 v[62:63], v[54:55], s[2:3], v[62:63] op_sel_hi:[1,0,1]
	v_pk_add_f32 v[72:73], v[68:69], v[62:63]
	v_pk_add_f32 v[62:63], v[68:69], v[62:63] neg_lo:[0,1] neg_hi:[0,1]
	v_mov_b32_e32 v68, v72
	v_mov_b32_e32 v69, v63
	;; [unrolled: 1-line block ×4, first 2 shown]
	ds_write2_b64 v43, v[32:33], v[68:69] offset1:18
	v_pk_add_f32 v[32:33], v[40:41], v[36:37] neg_lo:[0,1] neg_hi:[0,1]
	v_pk_add_f32 v[34:35], v[44:45], v[58:59] neg_lo:[0,1] neg_hi:[0,1]
	v_mov_b32_e32 v36, v70
	v_mov_b32_e32 v37, v65
	;; [unrolled: 1-line block ×6, first 2 shown]
	v_pk_fma_f32 v[36:37], v[34:35], s[18:19], v[36:37] op_sel_hi:[1,0,1] neg_lo:[1,0,1] neg_hi:[1,0,1]
	v_pk_fma_f32 v[38:39], v[32:33], s[14:15], v[38:39] op_sel_hi:[1,0,1] neg_lo:[1,0,1] neg_hi:[1,0,1]
	;; [unrolled: 1-line block ×4, first 2 shown]
	v_pk_add_f32 v[36:37], v[36:37], v[56:57]
	v_pk_fma_f32 v[38:39], v[54:55], s[2:3], v[38:39] op_sel_hi:[1,0,1]
	v_pk_add_f32 v[34:35], v[34:35], v[56:57]
	v_pk_fma_f32 v[32:33], v[54:55], s[2:3], v[32:33] op_sel_hi:[1,0,1]
	v_pk_add_f32 v[40:41], v[36:37], v[38:39]
	v_pk_add_f32 v[36:37], v[36:37], v[38:39] neg_lo:[0,1] neg_hi:[0,1]
	v_pk_add_f32 v[44:45], v[34:35], v[32:33] neg_lo:[0,1] neg_hi:[0,1]
	v_pk_add_f32 v[32:33], v[34:35], v[32:33]
	v_mov_b32_e32 v38, v40
	v_mov_b32_e32 v39, v37
	;; [unrolled: 1-line block ×7, first 2 shown]
	ds_write2_b64 v43, v[38:39], v[34:35] offset0:36 offset1:54
	ds_write2_b64 v43, v[32:33], v[36:37] offset0:72 offset1:90
	ds_write_b64 v43, v[62:63] offset:864
	s_and_saveexec_b64 s[26:27], s[0:1]
	s_cbranch_execz .LBB0_10
; %bb.9:
	v_mov_b32_e32 v32, v29
	v_mov_b32_e32 v33, v28
	v_mul_f32_e32 v44, v25, v11
	v_mul_f32_e32 v11, v24, v11
	v_pk_mul_f32 v[40:41], v[32:33], v[42:43]
	v_mul_f32_e32 v42, v24, v10
	v_fma_f32 v10, v25, v10, -v11
	v_pk_mul_f32 v[24:25], v[32:33], v[12:13]
	v_pk_mul_f32 v[38:39], v[30:31], v[8:9] op_sel_hi:[0,1]
	v_mov_b32_e32 v30, v31
	v_mov_b32_e32 v24, v25
	v_pk_mul_f32 v[34:35], v[22:23], v[2:3] op_sel_hi:[0,1]
	v_mov_b32_e32 v22, v23
	v_mov_b32_e32 v36, v23
	v_pk_mul_f32 v[28:29], v[28:29], v[12:13]
	v_pk_fma_f32 v[12:13], v[32:33], v[12:13], v[24:25] neg_lo:[0,0,1] neg_hi:[0,0,1]
	v_pk_fma_f32 v[24:25], v[30:31], v[8:9], v[38:39] op_sel:[0,0,1] op_sel_hi:[0,1,0] neg_lo:[0,0,1] neg_hi:[0,0,1]
	v_pk_fma_f32 v[8:9], v[30:31], v[8:9], v[38:39] op_sel:[0,0,1] op_sel_hi:[0,1,0]
	v_pk_mul_f32 v[58:59], v[26:27], v[6:7] op_sel_hi:[0,1]
	v_mov_b32_e32 v26, v27
	v_mov_b32_e32 v25, v9
	v_pk_fma_f32 v[8:9], v[22:23], v[2:3], v[34:35] op_sel:[0,0,1] op_sel_hi:[1,1,0] neg_lo:[0,0,1] neg_hi:[0,0,1]
	v_pk_fma_f32 v[2:3], v[36:37], v[2:3], v[34:35] op_sel:[0,0,1] op_sel_hi:[0,1,0]
	v_pk_mul_f32 v[54:55], v[20:21], v[4:5] op_sel_hi:[0,1]
	v_mov_b32_e32 v20, v21
	v_mov_b32_e32 v56, v21
	v_lshrrev_b32_e32 v11, 1, v48
	v_mov_b32_e32 v9, v3
	v_pk_fma_f32 v[2:3], v[26:27], v[6:7], v[58:59] op_sel:[0,0,1] op_sel_hi:[0,1,0] neg_lo:[0,0,1] neg_hi:[0,0,1]
	v_pk_fma_f32 v[6:7], v[26:27], v[6:7], v[58:59] op_sel:[0,0,1] op_sel_hi:[0,1,0]
	v_mul_u32_u24_e32 v11, 14, v11
	v_mov_b32_e32 v3, v7
	v_pk_fma_f32 v[6:7], v[20:21], v[4:5], v[54:55] op_sel:[0,0,1] op_sel_hi:[1,1,0] neg_lo:[0,0,1] neg_hi:[0,0,1]
	v_pk_fma_f32 v[4:5], v[56:57], v[4:5], v[54:55] op_sel:[0,0,1] op_sel_hi:[0,1,0]
	v_or_b32_e32 v11, v11, v53
	v_mov_b32_e32 v7, v5
	v_mov_b32_e32 v29, v8
	;; [unrolled: 1-line block ×5, first 2 shown]
	v_mul_u32_u24_e32 v11, 0x48, v11
	v_pk_add_f32 v[4:5], v[8:9], v[24:25]
	v_pk_add_f32 v[20:21], v[6:7], v[2:3]
	v_pk_add_f32 v[22:23], v[8:9], v[24:25] neg_lo:[0,1] neg_hi:[0,1]
	v_pk_add_f32 v[26:27], v[6:7], v[2:3] neg_lo:[0,1] neg_hi:[0,1]
	v_pk_add_f32 v[8:9], v[28:29], v[40:41]
	v_pk_add_f32 v[2:3], v[42:43], v[44:45]
	v_add3_u32 v53, 0, v11, v1
	v_mov_b32_e32 v13, v8
	v_mov_b32_e32 v11, v2
	v_pk_add_f32 v[6:7], v[12:13], v[10:11] neg_lo:[0,1] neg_hi:[0,1]
	v_mov_b32_e32 v28, v6
	v_pk_add_f32 v[30:31], v[6:7], v[26:27]
	v_mov_b32_e32 v32, v6
	v_mov_b32_e32 v33, v23
	;; [unrolled: 1-line block ×4, first 2 shown]
	v_pk_add_f32 v[6:7], v[32:33], v[6:7] neg_lo:[0,1] neg_hi:[0,1]
	v_mov_b32_e32 v32, v21
	v_mov_b32_e32 v33, v10
	;; [unrolled: 1-line block ×4, first 2 shown]
	v_pk_add_f32 v[10:11], v[32:33], v[10:11]
	v_pk_add_f32 v[12:13], v[2:3], v[8:9]
	;; [unrolled: 1-line block ×3, first 2 shown]
	v_mov_b32_e32 v10, v5
	v_mov_b32_e32 v13, v3
	v_pk_add_f32 v[34:35], v[10:11], v[12:13] neg_lo:[0,1] neg_hi:[0,1]
	v_mov_b32_e32 v13, v9
	v_mov_b32_e32 v10, v21
	;; [unrolled: 1-line block ×4, first 2 shown]
	v_pk_add_f32 v[10:11], v[12:13], v[10:11] neg_lo:[0,1] neg_hi:[0,1]
	v_pk_add_f32 v[24:25], v[24:25], v[28:29] neg_lo:[0,1] neg_hi:[0,1]
	v_pk_mul_f32 v[6:7], v[6:7], s[6:7]
	v_pk_add_f32 v[18:19], v[18:19], v[32:33]
	v_pk_mul_f32 v[10:11], v[10:11], s[22:23]
	v_pk_mul_f32 v[28:29], v[24:25], s[10:11]
	v_pk_add_f32 v[30:31], v[30:31], v[22:23]
	v_pk_fma_f32 v[24:25], v[24:25], s[10:11], v[6:7]
	v_pk_fma_f32 v[12:13], v[34:35], s[24:25], v[10:11]
	v_pk_fma_f32 v[32:33], v[32:33], s[20:21], v[18:19] op_sel_hi:[1,0,1]
	v_pk_fma_f32 v[24:25], v[30:31], s[2:3], v[24:25] op_sel_hi:[1,0,1]
	v_pk_add_f32 v[12:13], v[12:13], v[32:33]
	v_pk_mul_f32 v[36:37], v[34:35], s[24:25]
	v_pk_add_f32 v[34:35], v[12:13], v[24:25]
	v_pk_add_f32 v[12:13], v[12:13], v[24:25] neg_lo:[0,1] neg_hi:[0,1]
	v_mov_b32_e32 v24, v34
	v_mov_b32_e32 v25, v13
	;; [unrolled: 1-line block ×4, first 2 shown]
	ds_write2_b64 v53, v[18:19], v[24:25] offset1:18
	v_pk_add_f32 v[18:19], v[26:27], v[22:23] neg_lo:[0,1] neg_hi:[0,1]
	v_mov_b32_e32 v22, v28
	v_mov_b32_e32 v23, v7
	v_pk_add_f32 v[2:3], v[2:3], v[8:9] neg_lo:[0,1] neg_hi:[0,1]
	v_mov_b32_e32 v4, v36
	v_mov_b32_e32 v5, v11
	;; [unrolled: 1-line block ×4, first 2 shown]
	v_pk_fma_f32 v[22:23], v[18:19], s[14:15], v[22:23] op_sel_hi:[1,0,1] neg_lo:[1,0,1] neg_hi:[1,0,1]
	v_pk_fma_f32 v[4:5], v[2:3], s[18:19], v[4:5] op_sel_hi:[1,0,1] neg_lo:[1,0,1] neg_hi:[1,0,1]
	;; [unrolled: 1-line block ×4, first 2 shown]
	v_pk_fma_f32 v[22:23], v[30:31], s[2:3], v[22:23] op_sel_hi:[1,0,1]
	v_pk_add_f32 v[4:5], v[4:5], v[32:33]
	v_pk_fma_f32 v[6:7], v[30:31], s[2:3], v[6:7] op_sel_hi:[1,0,1]
	v_pk_add_f32 v[2:3], v[2:3], v[32:33]
	v_pk_add_f32 v[8:9], v[4:5], v[22:23]
	v_pk_add_f32 v[4:5], v[4:5], v[22:23] neg_lo:[0,1] neg_hi:[0,1]
	v_pk_add_f32 v[10:11], v[2:3], v[6:7] neg_lo:[0,1] neg_hi:[0,1]
	v_pk_add_f32 v[2:3], v[2:3], v[6:7]
	v_mov_b32_e32 v20, v8
	v_mov_b32_e32 v21, v5
	;; [unrolled: 1-line block ×7, first 2 shown]
	ds_write2_b64 v53, v[20:21], v[6:7] offset0:36 offset1:54
	ds_write2_b64 v53, v[2:3], v[4:5] offset0:72 offset1:90
	ds_write_b64 v53, v[12:13] offset:864
.LBB0_10:
	s_or_b64 exec, exec, s[26:27]
	v_mul_lo_u16_e32 v2, 37, v50
	v_lshrrev_b16_e32 v44, 9, v2
	v_mul_lo_u16_e32 v2, 14, v44
	v_sub_u16_e32 v2, v50, v2
	v_and_b32_e32 v45, 0xff, v2
	v_mul_u32_u24_e32 v2, 9, v45
	v_lshlrev_b32_e32 v22, 3, v2
	s_waitcnt lgkmcnt(0)
	s_barrier
	global_load_dwordx4 v[2:5], v22, s[16:17] offset:96
	global_load_dwordx4 v[6:9], v22, s[16:17] offset:112
	;; [unrolled: 1-line block ×4, first 2 shown]
	global_load_dwordx2 v[38:39], v22, s[16:17] offset:160
	v_mul_u32_u24_e32 v22, 0x48, v48
	v_add_u32_e32 v53, 0x2760, v52
	v_add3_u32 v61, 0, v22, v1
	v_add_u32_e32 v60, 0x3720, v52
	ds_read_b64 v[40:41], v52
	ds_read_b64 v[42:43], v52 offset:18144
	ds_read2_b64 v[22:25], v53 offset1:252
	ds_read2_b64 v[26:29], v60 offset1:252
	;; [unrolled: 1-line block ×3, first 2 shown]
	v_add_u32_e32 v62, 0xfc0, v61
	ds_read2_b64 v[34:37], v62 offset1:252
	s_movk_i32 s3, 0x8c
	v_mad_u32_u24 v44, v44, s3, v45
	v_mul_u32_u24_e32 v44, 0x48, v44
	v_add3_u32 v1, 0, v44, v1
	s_mov_b32 s0, 0x3e9e377a
	s_mov_b32 s1, 0x3f167918
	;; [unrolled: 1-line block ×8, first 2 shown]
	s_waitcnt lgkmcnt(0)
	s_barrier
	s_waitcnt vmcnt(4)
	v_pk_mul_f32 v[44:45], v[2:3], v[30:31] op_sel:[0,1]
	v_pk_mul_f32 v[54:55], v[4:5], v[32:33] op_sel:[0,1]
	s_waitcnt vmcnt(3)
	v_pk_mul_f32 v[56:57], v[6:7], v[34:35] op_sel:[0,1]
	v_pk_fma_f32 v[58:59], v[2:3], v[30:31], v[44:45] op_sel:[0,0,1] op_sel_hi:[1,0,0]
	v_pk_fma_f32 v[2:3], v[2:3], v[30:31], v[44:45] op_sel:[0,0,1] op_sel_hi:[1,0,0] neg_lo:[1,0,0] neg_hi:[1,0,0]
	v_pk_fma_f32 v[30:31], v[4:5], v[32:33], v[54:55] op_sel:[0,0,1] op_sel_hi:[1,1,0]
	v_pk_fma_f32 v[4:5], v[4:5], v[32:33], v[54:55] op_sel:[0,0,1] op_sel_hi:[1,0,0] neg_lo:[1,0,0] neg_hi:[1,0,0]
	v_pk_mul_f32 v[32:33], v[8:9], v[36:37] op_sel:[0,1]
	s_waitcnt vmcnt(2)
	v_pk_mul_f32 v[44:45], v[10:11], v[22:23] op_sel:[0,1]
	v_pk_fma_f32 v[54:55], v[6:7], v[34:35], v[56:57] op_sel:[0,0,1] op_sel_hi:[1,1,0]
	v_pk_fma_f32 v[6:7], v[6:7], v[34:35], v[56:57] op_sel:[0,0,1] op_sel_hi:[1,0,0] neg_lo:[1,0,0] neg_hi:[1,0,0]
	v_pk_fma_f32 v[34:35], v[8:9], v[36:37], v[32:33] op_sel:[0,0,1] op_sel_hi:[1,1,0]
	v_pk_fma_f32 v[8:9], v[8:9], v[36:37], v[32:33] op_sel:[0,0,1] op_sel_hi:[1,0,0] neg_lo:[1,0,0] neg_hi:[1,0,0]
	v_mov_b32_e32 v2, v13
	s_waitcnt vmcnt(1)
	v_pk_mul_f32 v[32:33], v[26:27], v[18:19] op_sel:[0,1]
	s_waitcnt vmcnt(0)
	v_pk_mul_f32 v[36:37], v[42:43], v[38:39] op_sel:[0,1]
	v_mov_b32_e32 v4, v21
	v_pk_fma_f32 v[56:57], v[42:43], v[38:39], v[36:37] op_sel:[0,0,1] op_sel_hi:[1,1,0]
	v_pk_fma_f32 v[36:37], v[42:43], v[38:39], v[36:37] op_sel:[0,0,1] op_sel_hi:[1,0,0] neg_lo:[0,0,1] neg_hi:[0,0,1]
	v_pk_fma_f32 v[38:39], v[10:11], v[22:23], v[44:45] op_sel:[0,0,1] op_sel_hi:[1,1,0]
	v_pk_fma_f32 v[10:11], v[10:11], v[22:23], v[44:45] op_sel:[0,0,1] op_sel_hi:[1,0,0] neg_lo:[1,0,0] neg_hi:[1,0,0]
	v_pk_mul_f32 v[22:23], v[24:25], v[2:3] op_sel_hi:[1,0]
	v_mov_b32_e32 v31, v5
	v_pk_fma_f32 v[42:43], v[26:27], v[18:19], v[32:33] op_sel:[0,0,1] op_sel_hi:[1,1,0]
	v_pk_mul_f32 v[4:5], v[28:29], v[4:5] op_sel_hi:[1,0]
	v_pk_fma_f32 v[18:19], v[26:27], v[18:19], v[32:33] op_sel:[0,0,1] op_sel_hi:[1,0,0] neg_lo:[0,0,1] neg_hi:[0,0,1]
	v_mov_b32_e32 v35, v9
	v_pk_fma_f32 v[8:9], v[24:25], v[12:13], v[22:23] op_sel:[0,0,1] op_sel_hi:[1,1,0]
	v_pk_fma_f32 v[12:13], v[24:25], v[12:13], v[22:23] op_sel:[0,0,1] op_sel_hi:[1,0,0] neg_lo:[0,0,1] neg_hi:[0,0,1]
	v_pk_fma_f32 v[22:23], v[28:29], v[20:21], v[4:5] op_sel:[0,0,1] op_sel_hi:[1,1,0]
	v_pk_fma_f32 v[4:5], v[28:29], v[20:21], v[4:5] op_sel:[0,0,1] op_sel_hi:[1,0,0] neg_lo:[0,0,1] neg_hi:[0,0,1]
	v_mov_b32_e32 v20, v54
	v_mov_b32_e32 v21, v56
	;; [unrolled: 1-line block ×6, first 2 shown]
	v_pk_add_f32 v[32:33], v[20:21], v[24:25] neg_lo:[0,1] neg_hi:[0,1]
	v_mov_b32_e32 v9, v13
	v_pk_add_f32 v[12:13], v[38:39], v[42:43]
	v_mov_b32_e32 v2, v33
	v_mov_b32_e32 v55, v7
	;; [unrolled: 1-line block ×3, first 2 shown]
	v_pk_add_f32 v[28:29], v[38:39], v[42:43] neg_lo:[0,1] neg_hi:[0,1]
	v_fma_f32 v6, -0.5, v12, v58
	v_pk_add_f32 v[32:33], v[32:33], v[2:3]
	v_pk_add_f32 v[26:27], v[54:55], v[56:57] neg_lo:[0,1] neg_hi:[0,1]
	v_mov_b32_e32 v10, v6
	v_mov_b32_e32 v33, v29
	v_fmac_f32_e32 v6, 0x3f737871, v27
	v_fmac_f32_e32 v10, 0xbf737871, v27
	v_pk_mul_f32 v[32:33], v[32:33], s[0:1]
	v_pk_add_f32 v[20:21], v[24:25], v[20:21] neg_lo:[0,1] neg_hi:[0,1]
	v_sub_f32_e32 v2, v10, v33
	v_add_f32_e32 v6, v33, v6
	v_mov_b32_e32 v10, v21
	v_mov_b32_e32 v18, v58
	v_add_f32_e32 v2, v32, v2
	v_add_f32_e32 v6, v32, v6
	v_pk_add_f32 v[32:33], v[54:55], v[56:57]
	v_pk_add_f32 v[20:21], v[20:21], v[10:11]
	v_fmac_f32_e32 v18, -0.5, v32
	v_mov_b32_e32 v21, v27
	v_mov_b32_e32 v10, v18
	v_pk_mul_f32 v[20:21], v[20:21], s[0:1]
	v_fmac_f32_e32 v18, 0xbf737871, v29
	v_add_f32_e32 v12, v21, v18
	v_mov_b32_e32 v36, v7
	v_mov_b32_e32 v18, v11
	v_pk_add_f32 v[24:25], v[36:37], v[18:19] neg_lo:[0,1] neg_hi:[0,1]
	v_mov_b32_e32 v32, v25
	v_fmac_f32_e32 v10, 0x3f737871, v29
	v_fma_f32 v13, -0.5, v13, v3
	v_pk_add_f32 v[24:25], v[24:25], v[32:33]
	v_mov_b32_e32 v59, v3
	v_sub_f32_e32 v10, v10, v21
	v_mov_b32_e32 v27, v13
	v_mov_b32_e32 v25, v28
	v_add_f32_e32 v10, v20, v10
	v_add_f32_e32 v12, v20, v12
	v_pk_add_f32 v[20:21], v[58:59], v[54:55]
	v_fmac_f32_e32 v27, 0x3f737871, v26
	v_pk_mul_f32 v[24:25], v[24:25], s[0:1]
	v_pk_add_f32 v[18:19], v[18:19], v[36:37] neg_lo:[0,1] neg_hi:[0,1]
	v_mov_b32_e32 v23, v5
	v_pk_add_f32 v[20:21], v[20:21], v[38:39]
	v_add_f32_e32 v7, v25, v27
	v_fmac_f32_e32 v13, 0xbf737871, v26
	v_mov_b32_e32 v36, v19
	v_pk_add_f32 v[20:21], v[20:21], v[42:43]
	v_add_f32_e32 v32, v24, v7
	v_sub_f32_e32 v7, v13, v25
	v_fmac_f32_e32 v3, -0.5, v33
	v_pk_add_f32 v[18:19], v[18:19], v[36:37]
	v_pk_add_f32 v[36:37], v[34:35], v[8:9]
	v_pk_add_f32 v[38:39], v[30:31], v[22:23] neg_lo:[0,1] neg_hi:[0,1]
	v_pk_add_f32 v[20:21], v[20:21], v[56:57]
	v_add_f32_e32 v24, v24, v7
	v_mov_b32_e32 v7, v3
	v_mov_b32_e32 v19, v26
	v_pk_fma_f32 v[36:37], v[36:37], 0.5, v[40:41] op_sel_hi:[1,0,1] neg_lo:[1,0,0] neg_hi:[1,0,0]
	v_pk_mul_f32 v[42:43], v[38:39], s[2:3] op_sel_hi:[1,0]
	v_pk_add_f32 v[44:45], v[34:35], v[8:9] neg_lo:[0,1] neg_hi:[0,1]
	v_pk_add_f32 v[56:57], v[30:31], v[34:35] neg_lo:[0,1] neg_hi:[0,1]
	;; [unrolled: 1-line block ×3, first 2 shown]
	v_pk_add_f32 v[4:5], v[40:41], v[30:31]
	v_fmac_f32_e32 v7, 0xbf737871, v28
	v_pk_mul_f32 v[18:19], v[18:19], s[0:1]
	v_fmac_f32_e32 v3, 0x3f737871, v28
	v_pk_mul_f32 v[54:55], v[44:45], s[6:7] op_sel_hi:[1,0]
	v_pk_add_f32 v[56:57], v[56:57], v[58:59]
	v_pk_add_f32 v[58:59], v[36:37], v[42:43] op_sel:[0,1] op_sel_hi:[1,0] neg_lo:[0,1] neg_hi:[0,1]
	v_pk_add_f32 v[36:37], v[36:37], v[42:43] op_sel:[0,1] op_sel_hi:[1,0]
	v_pk_add_f32 v[4:5], v[4:5], v[34:35]
	v_add_f32_e32 v7, v19, v7
	v_sub_f32_e32 v3, v3, v19
	v_pk_add_f32 v[36:37], v[36:37], v[54:55] op_sel:[0,1] op_sel_hi:[1,0]
	v_pk_add_f32 v[42:43], v[58:59], v[54:55] op_sel:[0,1] op_sel_hi:[1,0] neg_lo:[0,1] neg_hi:[0,1]
	v_pk_mul_f32 v[32:33], v[32:33], s[14:15] op_sel_hi:[0,1]
	v_pk_add_f32 v[4:5], v[4:5], v[8:9]
	v_add_f32_e32 v26, v18, v7
	v_add_f32_e32 v18, v18, v3
	v_mov_b32_e32 v54, v42
	v_mov_b32_e32 v55, v37
	v_pk_fma_f32 v[58:59], v[2:3], s[10:11], v[32:33] neg_lo:[0,0,1] neg_hi:[0,0,1]
	v_pk_fma_f32 v[2:3], v[2:3], s[10:11], v[32:33] op_sel_hi:[0,1,1]
	v_pk_add_f32 v[4:5], v[4:5], v[22:23]
	v_pk_fma_f32 v[54:55], v[56:57], s[0:1], v[54:55] op_sel_hi:[1,0,1]
	v_mov_b32_e32 v59, v3
	v_pk_add_f32 v[28:29], v[4:5], v[20:21]
	v_pk_add_f32 v[2:3], v[54:55], v[58:59]
	s_mov_b32 s3, s0
	ds_write2_b64 v1, v[28:29], v[2:3] offset1:126
	v_pk_add_f32 v[2:3], v[30:31], v[22:23]
	v_pk_add_f32 v[8:9], v[8:9], v[22:23] neg_lo:[0,1] neg_hi:[0,1]
	s_mov_b32 s10, s0
	s_mov_b32 s11, s2
	v_pk_mul_f32 v[22:23], v[26:27], s[2:3] op_sel_hi:[0,1]
	v_pk_fma_f32 v[26:27], v[10:11], s[10:11], v[22:23] neg_lo:[0,0,1] neg_hi:[0,0,1]
	v_pk_fma_f32 v[10:11], v[10:11], s[10:11], v[22:23] op_sel_hi:[0,1,1]
	v_pk_fma_f32 v[2:3], v[2:3], 0.5, v[40:41] op_sel_hi:[1,0,1] neg_lo:[1,0,0] neg_hi:[1,0,0]
	v_pk_add_f32 v[28:29], v[34:35], v[30:31] neg_lo:[0,1] neg_hi:[0,1]
	v_mov_b32_e32 v27, v11
	v_pk_mul_f32 v[10:11], v[44:45], s[2:3] op_sel_hi:[1,0]
	v_pk_add_f32 v[8:9], v[28:29], v[8:9]
	v_pk_mul_f32 v[22:23], v[38:39], s[6:7] op_sel_hi:[1,0]
	v_pk_add_f32 v[28:29], v[2:3], v[10:11] op_sel:[0,1] op_sel_hi:[1,0]
	v_pk_add_f32 v[2:3], v[2:3], v[10:11] op_sel:[0,1] op_sel_hi:[1,0] neg_lo:[0,1] neg_hi:[0,1]
	v_pk_add_f32 v[2:3], v[2:3], v[22:23] op_sel:[0,1] op_sel_hi:[1,0]
	v_pk_add_f32 v[10:11], v[28:29], v[22:23] op_sel:[0,1] op_sel_hi:[1,0] neg_lo:[0,1] neg_hi:[0,1]
	v_mov_b32_e32 v22, v10
	v_mov_b32_e32 v23, v3
	s_mov_b32 s6, 0xbe9e377a
	s_mov_b32 s7, s2
	v_pk_mul_f32 v[18:19], v[18:19], s[2:3] op_sel_hi:[0,1]
	v_mov_b32_e32 v3, v11
	v_pk_fma_f32 v[22:23], v[8:9], s[0:1], v[22:23] op_sel_hi:[1,0,1]
	v_pk_fma_f32 v[12:13], v[12:13], s[6:7], v[18:19] op_sel_hi:[0,1,1] neg_lo:[0,0,1] neg_hi:[0,0,1]
	v_pk_fma_f32 v[2:3], v[8:9], s[0:1], v[2:3] op_sel_hi:[1,0,1]
	v_pk_add_f32 v[28:29], v[22:23], v[26:27]
	v_pk_add_f32 v[8:9], v[2:3], v[12:13]
	v_add_u32_e32 v7, 0x400, v1
	ds_write2_b64 v7, v[28:29], v[8:9] offset0:124 offset1:250
	s_mov_b32 s2, 0xbf4f1bbd
	s_mov_b32 s3, s1
	v_pk_mul_f32 v[8:9], v[24:25], s[14:15] op_sel_hi:[0,1]
	v_mov_b32_e32 v37, v43
	v_pk_fma_f32 v[6:7], v[6:7], s[2:3], v[8:9] op_sel_hi:[0,1,1] neg_lo:[0,0,1] neg_hi:[0,0,1]
	v_pk_fma_f32 v[8:9], v[56:57], s[0:1], v[36:37] op_sel_hi:[1,0,1]
	v_pk_add_f32 v[10:11], v[8:9], v[6:7]
	v_pk_add_f32 v[4:5], v[4:5], v[20:21] neg_lo:[0,1] neg_hi:[0,1]
	v_add_u32_e32 v18, 0xc00, v1
	ds_write2_b64 v18, v[10:11], v[4:5] offset0:120 offset1:246
	v_pk_add_f32 v[4:5], v[54:55], v[58:59] neg_lo:[0,1] neg_hi:[0,1]
	v_pk_add_f32 v[10:11], v[22:23], v[26:27] neg_lo:[0,1] neg_hi:[0,1]
	v_add_u32_e32 v18, 0x1400, v1
	ds_write2_b64 v18, v[4:5], v[10:11] offset0:116 offset1:242
	v_pk_add_f32 v[2:3], v[2:3], v[12:13] neg_lo:[0,1] neg_hi:[0,1]
	v_pk_add_f32 v[4:5], v[8:9], v[6:7] neg_lo:[0,1] neg_hi:[0,1]
	v_add_u32_e32 v1, 0x1c00, v1
	s_movk_i32 s0, 0x3f0
	ds_write2_b64 v1, v[2:3], v[4:5] offset0:112 offset1:238
	v_add_u32_e32 v2, 0xffffff90, v50
	v_cmp_gt_u32_e64 s[0:1], s0, v0
	v_cndmask_b32_e64 v2, v2, v48, s[0:1]
	v_mov_b32_e32 v3, 0
	v_lshlrev_b64 v[4:5], 3, v[2:3]
	v_lshlrev_b32_e32 v1, 3, v50
	v_mov_b32_e32 v18, s17
	v_add_co_u32_e64 v4, s[0:1], s16, v4
	s_waitcnt lgkmcnt(0)
	s_barrier
	v_addc_co_u32_e64 v5, s[0:1], v18, v5, s[0:1]
	global_load_dwordx2 v[12:13], v1, s[16:17] offset:1104
	global_load_dwordx2 v[30:31], v[4:5], off offset:1104
	s_movk_i32 s0, 0x2f4
	v_add_u32_e32 v1, 0xffffffac, v50
	v_cmp_gt_u32_e64 s[0:1], s0, v0
	v_cndmask_b32_e64 v4, v1, v49, s[0:1]
	v_mov_b32_e32 v5, v3
	v_lshlrev_b64 v[6:7], 3, v[4:5]
	v_add_co_u32_e64 v8, s[0:1], s16, v6
	v_addc_co_u32_e64 v9, s[0:1], v18, v7, s[0:1]
	s_movk_i32 s0, 0x1f8
	v_subrev_u32_e32 v1, 56, v50
	v_cmp_gt_u32_e64 s[0:1], s0, v0
	v_cndmask_b32_e64 v6, v1, v17, s[0:1]
	v_mov_b32_e32 v7, v3
	v_lshlrev_b64 v[10:11], 3, v[6:7]
	v_add_co_u32_e64 v10, s[0:1], s16, v10
	v_addc_co_u32_e64 v11, s[0:1], v18, v11, s[0:1]
	s_movk_i32 s0, 0xfc
	v_subrev_u32_e32 v1, 28, v50
	v_cmp_gt_u32_e64 s[0:1], s0, v0
	v_cndmask_b32_e64 v0, v1, v46, s[0:1]
	v_mov_b32_e32 v1, v3
	global_load_dwordx2 v[32:33], v[8:9], off offset:1104
	global_load_dwordx2 v[34:35], v[10:11], off offset:1104
	v_lshlrev_b64 v[8:9], 3, v[0:1]
	v_add_co_u32_e64 v8, s[0:1], s16, v8
	v_addc_co_u32_e64 v9, s[0:1], v18, v9, s[0:1]
	s_load_dwordx2 s[0:1], s[4:5], 0x8
	v_mul_lo_u32 v1, v16, v50
	v_mov_b32_e32 v3, 3
	v_lshlrev_b32_sdwa v5, v3, v1 dst_sel:DWORD dst_unused:UNUSED_PAD src0_sel:DWORD src1_sel:BYTE_0
	global_load_dwordx2 v[36:37], v[8:9], off offset:1104
	v_lshlrev_b32_sdwa v1, v3, v1 dst_sel:DWORD dst_unused:UNUSED_PAD src0_sel:DWORD src1_sel:BYTE_1
	s_waitcnt lgkmcnt(0)
	global_load_dwordx2 v[38:39], v5, s[0:1]
	global_load_dwordx2 v[40:41], v1, s[0:1] offset:2048
	v_mul_lo_u32 v1, v16, v51
	v_lshlrev_b32_sdwa v5, v3, v1 dst_sel:DWORD dst_unused:UNUSED_PAD src0_sel:DWORD src1_sel:BYTE_0
	v_lshlrev_b32_sdwa v1, v3, v1 dst_sel:DWORD dst_unused:UNUSED_PAD src0_sel:DWORD src1_sel:BYTE_1
	global_load_dwordx2 v[42:43], v5, s[0:1]
	global_load_dwordx2 v[44:45], v1, s[0:1] offset:2048
	ds_read2_b64 v[8:11], v53 offset1:252
	ds_read2_b64 v[18:21], v61 offset1:252
	;; [unrolled: 1-line block ×4, first 2 shown]
	ds_read_b64 v[50:51], v52
	ds_read_b64 v[52:53], v52 offset:18144
	s_mov_b32 s11, 0x20000
	s_mov_b32 s10, -2
	s_waitcnt vmcnt(8) lgkmcnt(5)
	v_mul_f32_e32 v1, v13, v9
	v_fmac_f32_e32 v1, v12, v8
	v_mul_f32_e32 v5, v13, v8
	v_mul_lo_u32 v8, v16, v2
	v_lshlrev_b32_sdwa v54, v3, v8 dst_sel:DWORD dst_unused:UNUSED_PAD src0_sel:DWORD src1_sel:BYTE_0
	v_fma_f32 v5, v12, v9, -v5
	v_lshlrev_b32_sdwa v55, v3, v8 dst_sel:DWORD dst_unused:UNUSED_PAD src0_sel:DWORD src1_sel:BYTE_1
	global_load_dwordx2 v[8:9], v54, s[0:1]
	global_load_dwordx2 v[12:13], v55, s[0:1] offset:2048
	s_waitcnt vmcnt(9)
	v_mul_f32_e32 v7, v31, v11
	v_fmac_f32_e32 v7, v30, v10
	v_mul_f32_e32 v10, v31, v10
	v_fma_f32 v10, v30, v11, -v10
	s_waitcnt lgkmcnt(1)
	v_sub_f32_e32 v1, v50, v1
	v_fma_f32 v31, v50, 2.0, -v1
	v_sub_f32_e32 v50, v19, v10
	v_sub_f32_e32 v5, v51, v5
	;; [unrolled: 1-line block ×3, first 2 shown]
	s_waitcnt vmcnt(8)
	v_mul_f32_e32 v11, v33, v23
	v_fmac_f32_e32 v11, v32, v22
	v_mul_f32_e32 v22, v33, v22
	v_fma_f32 v22, v32, v23, -v22
	s_waitcnt vmcnt(7)
	v_mul_f32_e32 v23, v35, v25
	v_fmac_f32_e32 v23, v34, v24
	v_mul_f32_e32 v24, v35, v24
	v_sub_f32_e32 v54, v21, v22
	v_fma_f32 v24, v34, v25, -v24
	v_fma_f32 v56, v21, 2.0, -v54
	v_fma_f32 v32, v51, 2.0, -v5
	s_waitcnt vmcnt(6) lgkmcnt(0)
	v_mul_f32_e32 v30, v37, v52
	v_mul_f32_e32 v25, v37, v53
	s_waitcnt vmcnt(4)
	v_mul_f32_e32 v10, v38, v40
	v_fma_f32 v30, v36, v53, -v30
	v_sub_f32_e32 v53, v20, v11
	v_fma_f32 v21, -v39, v41, v10
	v_pk_mul_f32 v[10:11], v[38:39], v[40:41] op_sel:[1,0] op_sel_hi:[0,1]
	v_add_f32_e32 v22, v10, v11
	v_add_u32_e32 v10, 0x8c, v2
	v_mul_lo_u32 v10, v16, v10
	v_fma_f32 v55, v20, 2.0, -v53
	v_sub_f32_e32 v57, v26, v23
	v_lshlrev_b32_sdwa v20, v3, v10 dst_sel:DWORD dst_unused:UNUSED_PAD src0_sel:DWORD src1_sel:BYTE_0
	v_fmac_f32_e32 v25, v36, v52
	v_fma_f32 v51, v18, 2.0, -v7
	v_fma_f32 v52, v19, 2.0, -v50
	;; [unrolled: 1-line block ×3, first 2 shown]
	v_lshlrev_b32_sdwa v23, v3, v10 dst_sel:DWORD dst_unused:UNUSED_PAD src0_sel:DWORD src1_sel:BYTE_1
	global_load_dwordx2 v[10:11], v20, s[0:1]
	global_load_dwordx2 v[18:19], v23, s[0:1] offset:2048
	v_mul_f32_e32 v20, v32, v22
	v_mul_f32_e32 v26, v31, v22
	v_fmac_f32_e32 v20, v31, v21
	v_fma_f32 v21, v32, v21, -v26
	v_add_u32_e32 v26, 0x8c, v4
	v_sub_f32_e32 v58, v27, v24
	v_sub_f32_e32 v61, v28, v25
	v_mul_lo_u32 v22, v16, v4
	v_mul_lo_u32 v26, v16, v26
	v_fma_f32 v60, v27, 2.0, -v58
	v_sub_f32_e32 v62, v29, v30
	v_fma_f32 v63, v28, 2.0, -v61
	v_lshlrev_b32_sdwa v27, v3, v22 dst_sel:DWORD dst_unused:UNUSED_PAD src0_sel:DWORD src1_sel:BYTE_0
	v_lshlrev_b32_sdwa v28, v3, v22 dst_sel:DWORD dst_unused:UNUSED_PAD src0_sel:DWORD src1_sel:BYTE_1
	s_waitcnt vmcnt(4)
	v_mul_f32_e32 v30, v42, v44
	v_lshlrev_b32_sdwa v31, v3, v26 dst_sel:DWORD dst_unused:UNUSED_PAD src0_sel:DWORD src1_sel:BYTE_0
	v_fma_f32 v64, v29, 2.0, -v62
	global_load_dwordx2 v[22:23], v27, s[0:1]
	global_load_dwordx2 v[24:25], v28, s[0:1] offset:2048
	v_lshlrev_b32_sdwa v32, v3, v26 dst_sel:DWORD dst_unused:UNUSED_PAD src0_sel:DWORD src1_sel:BYTE_1
	global_load_dwordx2 v[26:27], v31, s[0:1]
	global_load_dwordx2 v[28:29], v32, s[0:1] offset:2048
	v_fma_f32 v35, -v43, v45, v30
	v_pk_mul_f32 v[30:31], v[42:43], v[44:45] op_sel:[1,0] op_sel_hi:[0,1]
	v_add_f32_e32 v40, v30, v31
	v_mul_lo_u32 v30, v16, v6
	v_lshlrev_b32_sdwa v34, v3, v30 dst_sel:DWORD dst_unused:UNUSED_PAD src0_sel:DWORD src1_sel:BYTE_0
	v_lshlrev_b32_sdwa v36, v3, v30 dst_sel:DWORD dst_unused:UNUSED_PAD src0_sel:DWORD src1_sel:BYTE_1
	global_load_dwordx2 v[30:31], v34, s[0:1]
	global_load_dwordx2 v[32:33], v36, s[0:1] offset:2048
	v_add_u32_e32 v36, 0x8c, v6
	v_mul_f32_e32 v34, v5, v40
	v_mul_lo_u32 v36, v16, v36
	v_fmac_f32_e32 v34, v1, v35
	v_lshlrev_b32_sdwa v41, v3, v36 dst_sel:DWORD dst_unused:UNUSED_PAD src0_sel:DWORD src1_sel:BYTE_0
	v_mul_f32_e32 v1, v1, v40
	v_lshlrev_b32_sdwa v42, v3, v36 dst_sel:DWORD dst_unused:UNUSED_PAD src0_sel:DWORD src1_sel:BYTE_1
	global_load_dwordx2 v[36:37], v41, s[0:1]
	global_load_dwordx2 v[38:39], v42, s[0:1] offset:2048
	v_fma_f32 v35, v5, v35, -v1
	v_mul_lo_u32 v5, v16, v0
	v_lshlrev_b32_sdwa v44, v3, v5 dst_sel:DWORD dst_unused:UNUSED_PAD src0_sel:DWORD src1_sel:BYTE_0
	v_lshlrev_b32_sdwa v5, v3, v5 dst_sel:DWORD dst_unused:UNUSED_PAD src0_sel:DWORD src1_sel:BYTE_1
	global_load_dwordx2 v[40:41], v44, s[0:1]
	global_load_dwordx2 v[42:43], v5, s[0:1] offset:2048
	v_add_u32_e32 v5, 0x8c, v0
	v_mul_lo_u32 v5, v16, v5
	s_waitcnt vmcnt(12)
	v_mul_f32_e32 v1, v8, v12
	v_lshlrev_b32_sdwa v16, v3, v5 dst_sel:DWORD dst_unused:UNUSED_PAD src0_sel:DWORD src1_sel:BYTE_0
	v_fma_f32 v1, -v9, v13, v1
	v_pk_mul_f32 v[8:9], v[8:9], v[12:13] op_sel:[1,0] op_sel_hi:[0,1]
	v_lshlrev_b32_sdwa v3, v3, v5 dst_sel:DWORD dst_unused:UNUSED_PAD src0_sel:DWORD src1_sel:BYTE_1
	global_load_dwordx2 v[12:13], v16, s[0:1]
	global_load_dwordx2 v[44:45], v3, s[0:1] offset:2048
	v_add_f32_e32 v3, v8, v9
	v_mul_f32_e32 v8, v52, v3
	v_mul_f32_e32 v3, v51, v3
	v_fmac_f32_e32 v8, v51, v1
	v_fma_f32 v9, v52, v1, -v3
	buffer_store_dwordx2 v[20:21], v15, s[8:11], s13 offen
	buffer_store_dwordx2 v[34:35], v47, s[8:11], s13 offen
	v_sub_u32_e32 v0, v46, v0
	v_add_u32_e32 v0, v0, v46
	s_waitcnt vmcnt(14)
	v_mul_f32_e32 v1, v10, v18
	v_fma_f32 v1, -v11, v19, v1
	v_pk_mul_f32 v[10:11], v[10:11], v[18:19] op_sel:[1,0] op_sel_hi:[0,1]
	v_add_f32_e32 v3, v10, v11
	v_mul_f32_e32 v10, v50, v3
	v_mul_f32_e32 v3, v7, v3
	v_fmac_f32_e32 v10, v7, v1
	v_fma_f32 v11, v50, v1, -v3
	s_waitcnt vmcnt(12)
	v_pk_mul_f32 v[18:19], v[22:23], v[24:25] op_sel:[1,0] op_sel_hi:[0,1]
	v_mul_f32_e32 v1, v22, v24
	v_add_f32_e32 v3, v18, v19
	v_fma_f32 v1, -v23, v25, v1
	v_mul_f32_e32 v18, v56, v3
	v_mul_f32_e32 v3, v55, v3
	s_waitcnt vmcnt(10)
	v_pk_mul_f32 v[22:23], v[26:27], v[28:29] op_sel:[1,0] op_sel_hi:[0,1]
	v_fmac_f32_e32 v18, v55, v1
	v_fma_f32 v19, v56, v1, -v3
	v_mul_f32_e32 v1, v26, v28
	v_add_f32_e32 v3, v22, v23
	v_fma_f32 v1, -v27, v29, v1
	v_mul_f32_e32 v22, v54, v3
	v_mul_f32_e32 v3, v53, v3
	s_waitcnt vmcnt(8)
	v_pk_mul_f32 v[24:25], v[30:31], v[32:33] op_sel:[1,0] op_sel_hi:[0,1]
	v_fmac_f32_e32 v22, v53, v1
	v_fma_f32 v23, v54, v1, -v3
	;; [unrolled: 9-line block ×4, first 2 shown]
	v_mul_f32_e32 v1, v40, v42
	v_add_f32_e32 v3, v28, v29
	v_fma_f32 v1, -v41, v43, v1
	v_mul_f32_e32 v28, v64, v3
	v_mul_f32_e32 v3, v63, v3
	v_fmac_f32_e32 v28, v63, v1
	v_fma_f32 v29, v64, v1, -v3
	s_waitcnt vmcnt(2)
	v_mul_f32_e32 v1, v12, v44
	v_fma_f32 v1, -v13, v45, v1
	v_pk_mul_f32 v[12:13], v[12:13], v[44:45] op_sel:[1,0] op_sel_hi:[0,1]
	v_add_f32_e32 v3, v12, v13
	v_mul_f32_e32 v12, v62, v3
	v_mul_f32_e32 v3, v61, v3
	v_fmac_f32_e32 v12, v61, v1
	v_fma_f32 v13, v62, v1, -v3
	v_sub_u32_e32 v1, v48, v2
	v_add_u32_e32 v1, v1, v48
	v_mul_lo_u32 v2, s12, v1
	v_add_u32_e32 v1, 0x8c, v1
	v_mul_lo_u32 v1, s12, v1
	v_add_lshl_u32 v2, v14, v2, 3
	v_add_lshl_u32 v1, v14, v1, 3
	v_cndmask_b32_e32 v2, -1, v2, vcc
	v_cndmask_b32_e32 v1, -1, v1, vcc
	buffer_store_dwordx2 v[8:9], v2, s[8:11], s13 offen
	buffer_store_dwordx2 v[10:11], v1, s[8:11], s13 offen
	v_sub_u32_e32 v1, v49, v4
	v_add_u32_e32 v1, v1, v49
	v_mul_lo_u32 v2, s12, v1
	v_add_u32_e32 v1, 0x8c, v1
	v_mul_lo_u32 v1, s12, v1
	v_add_lshl_u32 v2, v14, v2, 3
	v_add_lshl_u32 v1, v14, v1, 3
	v_cndmask_b32_e32 v2, -1, v2, vcc
	v_cndmask_b32_e32 v1, -1, v1, vcc
	buffer_store_dwordx2 v[18:19], v2, s[8:11], s13 offen
	buffer_store_dwordx2 v[22:23], v1, s[8:11], s13 offen
	;; [unrolled: 11-line block ×3, first 2 shown]
	v_mul_lo_u32 v1, s12, v0
	v_add_u32_e32 v0, 0x8c, v0
	v_mul_lo_u32 v0, s12, v0
	v_add_lshl_u32 v1, v14, v1, 3
	v_add_lshl_u32 v0, v14, v0, 3
	v_cndmask_b32_e32 v1, -1, v1, vcc
	v_cndmask_b32_e32 v0, -1, v0, vcc
	buffer_store_dwordx2 v[28:29], v1, s[8:11], s13 offen
	buffer_store_dwordx2 v[12:13], v0, s[8:11], s13 offen
	s_endpgm
	.section	.rodata,"a",@progbits
	.p2align	6, 0x0
	.amdhsa_kernel fft_rtc_back_len280_factors_2_7_10_2_wgs_252_tpt_28_dim3_sp_ip_CI_sbcc_twdbase8_2step_dirReg_intrinsicReadWrite
		.amdhsa_group_segment_fixed_size 0
		.amdhsa_private_segment_fixed_size 0
		.amdhsa_kernarg_size 88
		.amdhsa_user_sgpr_count 6
		.amdhsa_user_sgpr_private_segment_buffer 1
		.amdhsa_user_sgpr_dispatch_ptr 0
		.amdhsa_user_sgpr_queue_ptr 0
		.amdhsa_user_sgpr_kernarg_segment_ptr 1
		.amdhsa_user_sgpr_dispatch_id 0
		.amdhsa_user_sgpr_flat_scratch_init 0
		.amdhsa_user_sgpr_kernarg_preload_length 0
		.amdhsa_user_sgpr_kernarg_preload_offset 0
		.amdhsa_user_sgpr_private_segment_size 0
		.amdhsa_uses_dynamic_stack 0
		.amdhsa_system_sgpr_private_segment_wavefront_offset 0
		.amdhsa_system_sgpr_workgroup_id_x 1
		.amdhsa_system_sgpr_workgroup_id_y 0
		.amdhsa_system_sgpr_workgroup_id_z 0
		.amdhsa_system_sgpr_workgroup_info 0
		.amdhsa_system_vgpr_workitem_id 0
		.amdhsa_next_free_vgpr 76
		.amdhsa_next_free_sgpr 28
		.amdhsa_accum_offset 76
		.amdhsa_reserve_vcc 1
		.amdhsa_reserve_flat_scratch 0
		.amdhsa_float_round_mode_32 0
		.amdhsa_float_round_mode_16_64 0
		.amdhsa_float_denorm_mode_32 3
		.amdhsa_float_denorm_mode_16_64 3
		.amdhsa_dx10_clamp 1
		.amdhsa_ieee_mode 1
		.amdhsa_fp16_overflow 0
		.amdhsa_tg_split 0
		.amdhsa_exception_fp_ieee_invalid_op 0
		.amdhsa_exception_fp_denorm_src 0
		.amdhsa_exception_fp_ieee_div_zero 0
		.amdhsa_exception_fp_ieee_overflow 0
		.amdhsa_exception_fp_ieee_underflow 0
		.amdhsa_exception_fp_ieee_inexact 0
		.amdhsa_exception_int_div_zero 0
	.end_amdhsa_kernel
	.text
.Lfunc_end0:
	.size	fft_rtc_back_len280_factors_2_7_10_2_wgs_252_tpt_28_dim3_sp_ip_CI_sbcc_twdbase8_2step_dirReg_intrinsicReadWrite, .Lfunc_end0-fft_rtc_back_len280_factors_2_7_10_2_wgs_252_tpt_28_dim3_sp_ip_CI_sbcc_twdbase8_2step_dirReg_intrinsicReadWrite
                                        ; -- End function
	.section	.AMDGPU.csdata,"",@progbits
; Kernel info:
; codeLenInByte = 6580
; NumSgprs: 32
; NumVgprs: 76
; NumAgprs: 0
; TotalNumVgprs: 76
; ScratchSize: 0
; MemoryBound: 0
; FloatMode: 240
; IeeeMode: 1
; LDSByteSize: 0 bytes/workgroup (compile time only)
; SGPRBlocks: 3
; VGPRBlocks: 9
; NumSGPRsForWavesPerEU: 32
; NumVGPRsForWavesPerEU: 76
; AccumOffset: 76
; Occupancy: 6
; WaveLimiterHint : 0
; COMPUTE_PGM_RSRC2:SCRATCH_EN: 0
; COMPUTE_PGM_RSRC2:USER_SGPR: 6
; COMPUTE_PGM_RSRC2:TRAP_HANDLER: 0
; COMPUTE_PGM_RSRC2:TGID_X_EN: 1
; COMPUTE_PGM_RSRC2:TGID_Y_EN: 0
; COMPUTE_PGM_RSRC2:TGID_Z_EN: 0
; COMPUTE_PGM_RSRC2:TIDIG_COMP_CNT: 0
; COMPUTE_PGM_RSRC3_GFX90A:ACCUM_OFFSET: 18
; COMPUTE_PGM_RSRC3_GFX90A:TG_SPLIT: 0
	.text
	.p2alignl 6, 3212836864
	.fill 256, 4, 3212836864
	.type	__hip_cuid_f9c255d8df5fb406,@object ; @__hip_cuid_f9c255d8df5fb406
	.section	.bss,"aw",@nobits
	.globl	__hip_cuid_f9c255d8df5fb406
__hip_cuid_f9c255d8df5fb406:
	.byte	0                               ; 0x0
	.size	__hip_cuid_f9c255d8df5fb406, 1

	.ident	"AMD clang version 19.0.0git (https://github.com/RadeonOpenCompute/llvm-project roc-6.4.0 25133 c7fe45cf4b819c5991fe208aaa96edf142730f1d)"
	.section	".note.GNU-stack","",@progbits
	.addrsig
	.addrsig_sym __hip_cuid_f9c255d8df5fb406
	.amdgpu_metadata
---
amdhsa.kernels:
  - .agpr_count:     0
    .args:
      - .actual_access:  read_only
        .address_space:  global
        .offset:         0
        .size:           8
        .value_kind:     global_buffer
      - .address_space:  global
        .offset:         8
        .size:           8
        .value_kind:     global_buffer
      - .actual_access:  read_only
        .address_space:  global
        .offset:         16
        .size:           8
        .value_kind:     global_buffer
      - .actual_access:  read_only
        .address_space:  global
        .offset:         24
        .size:           8
        .value_kind:     global_buffer
      - .offset:         32
        .size:           8
        .value_kind:     by_value
      - .actual_access:  read_only
        .address_space:  global
        .offset:         40
        .size:           8
        .value_kind:     global_buffer
      - .actual_access:  read_only
        .address_space:  global
        .offset:         48
        .size:           8
        .value_kind:     global_buffer
      - .offset:         56
        .size:           4
        .value_kind:     by_value
      - .actual_access:  read_only
        .address_space:  global
        .offset:         64
        .size:           8
        .value_kind:     global_buffer
      - .actual_access:  read_only
        .address_space:  global
        .offset:         72
        .size:           8
        .value_kind:     global_buffer
      - .address_space:  global
        .offset:         80
        .size:           8
        .value_kind:     global_buffer
    .group_segment_fixed_size: 0
    .kernarg_segment_align: 8
    .kernarg_segment_size: 88
    .language:       OpenCL C
    .language_version:
      - 2
      - 0
    .max_flat_workgroup_size: 252
    .name:           fft_rtc_back_len280_factors_2_7_10_2_wgs_252_tpt_28_dim3_sp_ip_CI_sbcc_twdbase8_2step_dirReg_intrinsicReadWrite
    .private_segment_fixed_size: 0
    .sgpr_count:     32
    .sgpr_spill_count: 0
    .symbol:         fft_rtc_back_len280_factors_2_7_10_2_wgs_252_tpt_28_dim3_sp_ip_CI_sbcc_twdbase8_2step_dirReg_intrinsicReadWrite.kd
    .uniform_work_group_size: 1
    .uses_dynamic_stack: false
    .vgpr_count:     76
    .vgpr_spill_count: 0
    .wavefront_size: 64
amdhsa.target:   amdgcn-amd-amdhsa--gfx90a
amdhsa.version:
  - 1
  - 2
...

	.end_amdgpu_metadata
